;; amdgpu-corpus repo=ROCm/rocFFT kind=compiled arch=gfx906 opt=O3
	.text
	.amdgcn_target "amdgcn-amd-amdhsa--gfx906"
	.amdhsa_code_object_version 6
	.protected	bluestein_single_fwd_len648_dim1_dp_op_CI_CI ; -- Begin function bluestein_single_fwd_len648_dim1_dp_op_CI_CI
	.globl	bluestein_single_fwd_len648_dim1_dp_op_CI_CI
	.p2align	8
	.type	bluestein_single_fwd_len648_dim1_dp_op_CI_CI,@function
bluestein_single_fwd_len648_dim1_dp_op_CI_CI: ; @bluestein_single_fwd_len648_dim1_dp_op_CI_CI
; %bb.0:
	s_load_dwordx4 s[0:3], s[4:5], 0x28
	v_mul_u32_u24_e32 v1, 0x130, v0
	v_add_u32_sdwa v64, s6, v1 dst_sel:DWORD dst_unused:UNUSED_PAD src0_sel:DWORD src1_sel:WORD_1
	v_mov_b32_e32 v65, 0
	s_waitcnt lgkmcnt(0)
	v_cmp_gt_u64_e32 vcc, s[0:1], v[64:65]
	s_and_saveexec_b64 s[0:1], vcc
	s_cbranch_execz .LBB0_15
; %bb.1:
	s_load_dwordx2 s[14:15], s[4:5], 0x0
	s_load_dwordx2 s[12:13], s[4:5], 0x38
	s_movk_i32 s0, 0xd8
	v_mul_lo_u16_sdwa v1, v1, s0 dst_sel:DWORD dst_unused:UNUSED_PAD src0_sel:WORD_1 src1_sel:DWORD
	v_sub_u16_e32 v66, v0, v1
	s_movk_i32 s0, 0x51
	v_cmp_gt_u16_e64 s[0:1], s0, v66
	v_lshlrev_b32_e32 v65, 4, v66
	s_and_saveexec_b64 s[6:7], s[0:1]
	s_cbranch_execz .LBB0_3
; %bb.2:
	s_load_dwordx2 s[8:9], s[4:5], 0x18
	s_waitcnt lgkmcnt(0)
	s_load_dwordx4 s[8:11], s[8:9], 0x0
	s_waitcnt lgkmcnt(0)
	v_mad_u64_u32 v[0:1], s[16:17], s10, v64, 0
	v_mad_u64_u32 v[2:3], s[16:17], s8, v66, 0
	;; [unrolled: 1-line block ×4, first 2 shown]
	v_mov_b32_e32 v1, v4
	v_lshlrev_b64 v[0:1], 4, v[0:1]
	v_mov_b32_e32 v3, v5
	v_mov_b32_e32 v6, s3
	v_lshlrev_b64 v[2:3], 4, v[2:3]
	v_add_co_u32_e32 v0, vcc, s2, v0
	v_addc_co_u32_e32 v1, vcc, v6, v1, vcc
	v_add_co_u32_e32 v12, vcc, v0, v2
	s_mul_i32 s2, s9, 0x510
	s_mul_hi_u32 s3, s8, 0x510
	v_addc_co_u32_e32 v13, vcc, v1, v3, vcc
	s_add_i32 s2, s3, s2
	s_mul_i32 s3, s8, 0x510
	v_mov_b32_e32 v4, s2
	v_add_co_u32_e32 v20, vcc, s3, v12
	v_addc_co_u32_e32 v21, vcc, v13, v4, vcc
	global_load_dwordx4 v[0:3], v65, s[14:15]
	global_load_dwordx4 v[4:7], v[12:13], off
	global_load_dwordx4 v[8:11], v[20:21], off
	v_mov_b32_e32 v12, s15
	v_add_co_u32_e32 v58, vcc, s14, v65
	v_addc_co_u32_e32 v59, vcc, 0, v12, vcc
	v_mov_b32_e32 v22, s2
	v_add_co_u32_e32 v32, vcc, s3, v20
	v_addc_co_u32_e32 v33, vcc, v21, v22, vcc
	;; [unrolled: 3-line block ×3, first 2 shown]
	s_movk_i32 s9, 0x1000
	v_add_co_u32_e32 v56, vcc, s9, v58
	v_addc_co_u32_e32 v57, vcc, 0, v59, vcc
	global_load_dwordx4 v[12:15], v65, s[14:15] offset:1296
	global_load_dwordx4 v[16:19], v65, s[14:15] offset:2592
	global_load_dwordx4 v[20:23], v[32:33], off
	global_load_dwordx4 v[24:27], v[34:35], off
	global_load_dwordx4 v[28:31], v65, s[14:15] offset:3888
	v_mov_b32_e32 v32, s2
	v_add_co_u32_e32 v44, vcc, s3, v34
	v_addc_co_u32_e32 v45, vcc, v35, v32, vcc
	v_mov_b32_e32 v46, s2
	v_add_co_u32_e32 v48, vcc, s3, v44
	v_addc_co_u32_e32 v49, vcc, v45, v46, vcc
	v_mov_b32_e32 v50, s2
	v_add_co_u32_e32 v60, vcc, s3, v48
	s_movk_i32 s8, 0x2000
	v_addc_co_u32_e32 v61, vcc, v49, v50, vcc
	global_load_dwordx4 v[32:35], v[44:45], off
	global_load_dwordx4 v[36:39], v[56:57], off offset:1088
	global_load_dwordx4 v[40:43], v[56:57], off offset:2384
	v_mov_b32_e32 v62, s2
	global_load_dwordx4 v[44:47], v[48:49], off
	s_nop 0
	global_load_dwordx4 v[48:51], v[56:57], off offset:3680
	global_load_dwordx4 v[52:55], v[60:61], off
	v_add_co_u32_e32 v56, vcc, s8, v58
	v_addc_co_u32_e32 v57, vcc, 0, v59, vcc
	v_add_co_u32_e32 v60, vcc, s3, v60
	v_addc_co_u32_e32 v61, vcc, v61, v62, vcc
	global_load_dwordx4 v[56:59], v[56:57], off offset:880
	s_waitcnt vmcnt(13)
	v_mul_f64 v[67:68], v[6:7], v[2:3]
	global_load_dwordx4 v[60:63], v[60:61], off
	v_mul_f64 v[69:70], v[4:5], v[2:3]
	v_fma_f64 v[2:3], v[4:5], v[0:1], v[67:68]
	v_fma_f64 v[4:5], v[6:7], v[0:1], -v[69:70]
	s_waitcnt vmcnt(12)
	v_mul_f64 v[71:72], v[10:11], v[14:15]
	v_mul_f64 v[14:15], v[8:9], v[14:15]
	s_waitcnt vmcnt(10)
	v_mul_f64 v[73:74], v[22:23], v[18:19]
	v_mul_f64 v[18:19], v[20:21], v[18:19]
	;; [unrolled: 3-line block ×3, first 2 shown]
	v_fma_f64 v[6:7], v[8:9], v[12:13], v[71:72]
	v_fma_f64 v[8:9], v[10:11], v[12:13], -v[14:15]
	v_fma_f64 v[10:11], v[20:21], v[16:17], v[73:74]
	v_fma_f64 v[12:13], v[22:23], v[16:17], -v[18:19]
	;; [unrolled: 2-line block ×3, first 2 shown]
	s_waitcnt vmcnt(6)
	v_mul_f64 v[77:78], v[34:35], v[38:39]
	v_mul_f64 v[38:39], v[32:33], v[38:39]
	s_waitcnt vmcnt(4)
	v_mul_f64 v[79:80], v[46:47], v[42:43]
	v_mul_f64 v[42:43], v[44:45], v[42:43]
	s_waitcnt vmcnt(2)
	v_mul_f64 v[81:82], v[54:55], v[50:51]
	v_mul_f64 v[0:1], v[52:53], v[50:51]
	v_fma_f64 v[18:19], v[32:33], v[36:37], v[77:78]
	v_fma_f64 v[20:21], v[34:35], v[36:37], -v[38:39]
	v_fma_f64 v[22:23], v[44:45], v[40:41], v[79:80]
	v_fma_f64 v[24:25], v[46:47], v[40:41], -v[42:43]
	;; [unrolled: 2-line block ×3, first 2 shown]
	s_waitcnt vmcnt(0)
	v_mul_f64 v[30:31], v[62:63], v[58:59]
	v_mul_f64 v[50:51], v[60:61], v[58:59]
	v_fma_f64 v[30:31], v[60:61], v[56:57], v[30:31]
	v_fma_f64 v[32:33], v[62:63], v[56:57], -v[50:51]
	ds_write_b128 v65, v[2:5]
	ds_write_b128 v65, v[6:9] offset:1296
	ds_write_b128 v65, v[10:13] offset:2592
	;; [unrolled: 1-line block ×7, first 2 shown]
.LBB0_3:
	s_or_b64 exec, exec, s[6:7]
	s_load_dwordx2 s[6:7], s[4:5], 0x20
	s_load_dwordx2 s[2:3], s[4:5], 0x8
	s_waitcnt lgkmcnt(0)
	s_barrier
	s_waitcnt lgkmcnt(0)
                                        ; implicit-def: $vgpr0_vgpr1
                                        ; implicit-def: $vgpr8_vgpr9
                                        ; implicit-def: $vgpr16_vgpr17
                                        ; implicit-def: $vgpr24_vgpr25
                                        ; implicit-def: $vgpr28_vgpr29
                                        ; implicit-def: $vgpr20_vgpr21
                                        ; implicit-def: $vgpr12_vgpr13
                                        ; implicit-def: $vgpr4_vgpr5
	s_and_saveexec_b64 s[4:5], s[0:1]
	s_cbranch_execz .LBB0_5
; %bb.4:
	ds_read_b128 v[0:3], v65
	ds_read_b128 v[4:7], v65 offset:1296
	ds_read_b128 v[8:11], v65 offset:2592
	ds_read_b128 v[12:15], v65 offset:3888
	ds_read_b128 v[20:23], v65 offset:5184
	ds_read_b128 v[16:19], v65 offset:6480
	ds_read_b128 v[28:31], v65 offset:7776
	ds_read_b128 v[24:27], v65 offset:9072
.LBB0_5:
	s_or_b64 exec, exec, s[4:5]
	s_waitcnt lgkmcnt(3)
	v_add_f64 v[20:21], v[0:1], -v[20:21]
	v_add_f64 v[22:23], v[2:3], -v[22:23]
	s_waitcnt lgkmcnt(1)
	v_add_f64 v[28:29], v[8:9], -v[28:29]
	v_add_f64 v[30:31], v[10:11], -v[30:31]
	;; [unrolled: 1-line block ×4, first 2 shown]
	s_mov_b32 s4, 0x667f3bcd
	s_mov_b32 s5, 0xbfe6a09e
	v_fma_f64 v[34:35], v[0:1], 2.0, -v[20:21]
	v_fma_f64 v[36:37], v[2:3], 2.0, -v[22:23]
	;; [unrolled: 1-line block ×4, first 2 shown]
	s_waitcnt lgkmcnt(0)
	v_add_f64 v[8:9], v[12:13], -v[24:25]
	v_add_f64 v[10:11], v[14:15], -v[26:27]
	v_fma_f64 v[24:25], v[4:5], 2.0, -v[32:33]
	v_fma_f64 v[26:27], v[6:7], 2.0, -v[18:19]
	v_add_f64 v[30:31], v[20:21], -v[30:31]
	v_add_f64 v[28:29], v[28:29], v[22:23]
	v_add_f64 v[0:1], v[34:35], -v[0:1]
	s_mov_b32 s9, 0x3fe6a09e
	v_fma_f64 v[38:39], v[12:13], 2.0, -v[8:9]
	v_fma_f64 v[14:15], v[14:15], 2.0, -v[10:11]
	v_add_f64 v[10:11], v[32:33], -v[10:11]
	v_add_f64 v[8:9], v[8:9], v[18:19]
	s_mov_b32 s8, s4
	v_add_f64 v[16:17], v[36:37], -v[2:3]
	v_fma_f64 v[2:3], v[20:21], 2.0, -v[30:31]
	v_fma_f64 v[4:5], v[34:35], 2.0, -v[0:1]
	;; [unrolled: 1-line block ×3, first 2 shown]
	v_add_f64 v[42:43], v[24:25], -v[38:39]
	v_add_f64 v[14:15], v[26:27], -v[14:15]
	v_fma_f64 v[34:35], v[32:33], 2.0, -v[10:11]
	v_fma_f64 v[18:19], v[18:19], 2.0, -v[8:9]
	v_fma_f64 v[20:21], v[10:11], s[8:9], v[30:31]
	v_fma_f64 v[22:23], v[8:9], s[8:9], v[28:29]
	v_fma_f64 v[6:7], v[36:37], 2.0, -v[16:17]
	v_lshlrev_b16_e32 v67, 3, v66
	v_fma_f64 v[24:25], v[24:25], 2.0, -v[42:43]
	v_fma_f64 v[26:27], v[26:27], 2.0, -v[14:15]
	v_fma_f64 v[32:33], v[34:35], s[4:5], v[2:3]
	v_fma_f64 v[40:41], v[18:19], s[4:5], v[12:13]
	;; [unrolled: 1-line block ×4, first 2 shown]
	v_add_f64 v[42:43], v[16:17], v[42:43]
	v_add_f64 v[20:21], v[4:5], -v[24:25]
	v_add_f64 v[22:23], v[6:7], -v[26:27]
	v_fma_f64 v[32:33], v[18:19], s[4:5], v[32:33]
	v_fma_f64 v[34:35], v[34:35], s[8:9], v[40:41]
	v_add_f64 v[40:41], v[0:1], -v[14:15]
	v_fma_f64 v[8:9], v[30:31], 2.0, -v[36:37]
	v_fma_f64 v[10:11], v[28:29], 2.0, -v[38:39]
	s_barrier
	s_and_saveexec_b64 s[4:5], s[0:1]
	s_cbranch_execz .LBB0_7
; %bb.6:
	v_fma_f64 v[6:7], v[6:7], 2.0, -v[22:23]
	v_fma_f64 v[4:5], v[4:5], 2.0, -v[20:21]
	;; [unrolled: 1-line block ×6, first 2 shown]
	v_lshlrev_b32_e32 v0, 4, v67
	ds_write_b128 v0, v[4:7]
	ds_write_b128 v0, v[16:19] offset:16
	ds_write_b128 v0, v[12:15] offset:32
	;; [unrolled: 1-line block ×7, first 2 shown]
.LBB0_7:
	s_or_b64 exec, exec, s[4:5]
	v_and_b32_e32 v48, 7, v66
	v_lshlrev_b32_e32 v12, 5, v48
	s_load_dwordx4 s[4:7], s[6:7], 0x0
	s_waitcnt lgkmcnt(0)
	s_barrier
	global_load_dwordx4 v[4:7], v12, s[2:3]
	global_load_dwordx4 v[0:3], v12, s[2:3] offset:16
	ds_read_b128 v[12:15], v65 offset:3456
	ds_read_b128 v[16:19], v65 offset:6912
	ds_read_b128 v[24:27], v65
	s_mov_b32 s8, 0xe8584caa
	s_mov_b32 s9, 0x3febb67a
	;; [unrolled: 1-line block ×4, first 2 shown]
	s_movk_i32 s16, 0xab
	v_mul_lo_u16_sdwa v50, v66, s16 dst_sel:DWORD dst_unused:UNUSED_PAD src0_sel:BYTE_0 src1_sel:DWORD
	v_lshrrev_b16_e32 v56, 12, v50
	s_waitcnt vmcnt(0) lgkmcnt(0)
	s_barrier
	v_mul_f64 v[28:29], v[14:15], v[6:7]
	v_mul_f64 v[30:31], v[18:19], v[2:3]
	;; [unrolled: 1-line block ×4, first 2 shown]
	v_fma_f64 v[12:13], v[12:13], v[4:5], -v[28:29]
	v_fma_f64 v[16:17], v[16:17], v[0:1], -v[30:31]
	v_fma_f64 v[14:15], v[14:15], v[4:5], v[44:45]
	v_fma_f64 v[18:19], v[18:19], v[0:1], v[46:47]
	v_lshrrev_b32_e32 v28, 3, v66
	v_mul_u32_u24_e32 v49, 24, v28
	v_add_f64 v[44:45], v[24:25], v[12:13]
	v_add_f64 v[28:29], v[12:13], v[16:17]
	;; [unrolled: 1-line block ×3, first 2 shown]
	v_add_f64 v[46:47], v[14:15], -v[18:19]
	v_add_f64 v[14:15], v[26:27], v[14:15]
	v_fma_f64 v[24:25], v[28:29], -0.5, v[24:25]
	v_add_f64 v[28:29], v[12:13], -v[16:17]
	v_fma_f64 v[26:27], v[30:31], -0.5, v[26:27]
	v_add_f64 v[12:13], v[44:45], v[16:17]
	v_add_f64 v[14:15], v[14:15], v[18:19]
	v_or_b32_e32 v30, v49, v48
	v_lshlrev_b32_e32 v68, 4, v30
	v_fma_f64 v[16:17], v[46:47], s[8:9], v[24:25]
	v_fma_f64 v[24:25], v[46:47], s[10:11], v[24:25]
	v_fma_f64 v[18:19], v[28:29], s[10:11], v[26:27]
	v_fma_f64 v[26:27], v[28:29], s[8:9], v[26:27]
	v_mul_lo_u16_e32 v28, 24, v56
	v_sub_u16_e32 v28, v66, v28
	v_and_b32_e32 v57, 0xff, v28
	v_lshlrev_b32_e32 v28, 5, v57
	ds_write_b128 v68, v[12:15]
	ds_write_b128 v68, v[16:19] offset:128
	ds_write_b128 v68, v[24:27] offset:256
	s_waitcnt lgkmcnt(0)
	s_barrier
	global_load_dwordx4 v[16:19], v28, s[2:3] offset:256
	global_load_dwordx4 v[12:15], v28, s[2:3] offset:272
	ds_read_b128 v[24:27], v65 offset:3456
	ds_read_b128 v[28:31], v65 offset:6912
	ds_read_b128 v[44:47], v65
	v_mul_u32_u24_e32 v56, 0x48, v56
	v_add_lshl_u32 v69, v56, v57, 4
	s_waitcnt vmcnt(0) lgkmcnt(0)
	s_barrier
	v_mul_f64 v[48:49], v[26:27], v[18:19]
	v_mul_f64 v[50:51], v[30:31], v[14:15]
	;; [unrolled: 1-line block ×4, first 2 shown]
	v_fma_f64 v[24:25], v[24:25], v[16:17], -v[48:49]
	v_fma_f64 v[28:29], v[28:29], v[12:13], -v[50:51]
	v_fma_f64 v[26:27], v[26:27], v[16:17], v[52:53]
	v_fma_f64 v[30:31], v[30:31], v[12:13], v[54:55]
	v_mov_b32_e32 v50, 57
	v_mul_lo_u16_sdwa v52, v66, v50 dst_sel:DWORD dst_unused:UNUSED_PAD src0_sel:BYTE_0 src1_sel:DWORD
	v_lshrrev_b16_e32 v72, 12, v52
	v_add_f64 v[52:53], v[44:45], v[24:25]
	v_add_f64 v[48:49], v[24:25], v[28:29]
	;; [unrolled: 1-line block ×3, first 2 shown]
	v_add_f64 v[54:55], v[26:27], -v[30:31]
	v_add_f64 v[26:27], v[46:47], v[26:27]
	v_fma_f64 v[44:45], v[48:49], -0.5, v[44:45]
	v_add_f64 v[48:49], v[24:25], -v[28:29]
	v_fma_f64 v[46:47], v[50:51], -0.5, v[46:47]
	v_mul_lo_u16_e32 v24, 0x48, v72
	v_sub_u16_e32 v24, v66, v24
	v_and_b32_e32 v73, 0xff, v24
	v_add_f64 v[24:25], v[52:53], v[28:29]
	v_add_f64 v[26:27], v[26:27], v[30:31]
	v_fma_f64 v[28:29], v[54:55], s[8:9], v[44:45]
	v_fma_f64 v[44:45], v[54:55], s[10:11], v[44:45]
	;; [unrolled: 1-line block ×4, first 2 shown]
	v_lshlrev_b32_e32 v48, 5, v73
	ds_write_b128 v69, v[24:27]
	ds_write_b128 v69, v[28:31] offset:384
	ds_write_b128 v69, v[44:47] offset:768
	s_waitcnt lgkmcnt(0)
	s_barrier
	global_load_dwordx4 v[28:31], v48, s[2:3] offset:1024
	global_load_dwordx4 v[24:27], v48, s[2:3] offset:1040
	ds_read_b128 v[44:47], v65 offset:3456
	ds_read_b128 v[48:51], v65 offset:6912
	ds_read_b128 v[52:55], v65
	s_waitcnt vmcnt(0) lgkmcnt(0)
	s_barrier
	v_mul_f64 v[56:57], v[46:47], v[30:31]
	v_mul_f64 v[58:59], v[50:51], v[26:27]
	;; [unrolled: 1-line block ×4, first 2 shown]
	v_fma_f64 v[44:45], v[44:45], v[28:29], -v[56:57]
	v_fma_f64 v[48:49], v[48:49], v[24:25], -v[58:59]
	v_fma_f64 v[46:47], v[46:47], v[28:29], v[60:61]
	v_fma_f64 v[50:51], v[50:51], v[24:25], v[62:63]
	v_add_f64 v[62:63], v[52:53], v[44:45]
	v_add_f64 v[56:57], v[44:45], v[48:49]
	;; [unrolled: 1-line block ×4, first 2 shown]
	v_add_f64 v[70:71], v[46:47], -v[50:51]
	v_fma_f64 v[52:53], v[56:57], -0.5, v[52:53]
	v_add_f64 v[56:57], v[44:45], -v[48:49]
	v_fma_f64 v[54:55], v[58:59], -0.5, v[54:55]
	v_add_f64 v[46:47], v[60:61], v[50:51]
	v_add_f64 v[44:45], v[62:63], v[48:49]
	v_lshlrev_b32_e32 v58, 5, v66
	v_fma_f64 v[48:49], v[70:71], s[8:9], v[52:53]
	v_fma_f64 v[52:53], v[70:71], s[10:11], v[52:53]
	;; [unrolled: 1-line block ×4, first 2 shown]
	v_mul_u32_u24_e32 v56, 0xd8, v72
	v_add_lshl_u32 v70, v56, v73, 4
	ds_write_b128 v70, v[44:47]
	ds_write_b128 v70, v[48:51] offset:1152
	ds_write_b128 v70, v[52:55] offset:2304
	s_waitcnt lgkmcnt(0)
	s_barrier
	global_load_dwordx4 v[44:47], v58, s[2:3] offset:3328
	global_load_dwordx4 v[48:51], v58, s[2:3] offset:3344
	ds_read_b128 v[52:55], v65 offset:3456
	ds_read_b128 v[56:59], v65 offset:6912
	ds_read_b128 v[60:63], v65
	s_waitcnt vmcnt(1) lgkmcnt(2)
	v_mul_f64 v[71:72], v[54:55], v[46:47]
	s_waitcnt vmcnt(0) lgkmcnt(1)
	v_mul_f64 v[73:74], v[58:59], v[50:51]
	v_mul_f64 v[75:76], v[52:53], v[46:47]
	;; [unrolled: 1-line block ×3, first 2 shown]
	v_fma_f64 v[52:53], v[52:53], v[44:45], -v[71:72]
	v_fma_f64 v[56:57], v[56:57], v[48:49], -v[73:74]
	v_fma_f64 v[54:55], v[54:55], v[44:45], v[75:76]
	v_fma_f64 v[58:59], v[58:59], v[48:49], v[77:78]
	s_waitcnt lgkmcnt(0)
	v_add_f64 v[77:78], v[60:61], v[52:53]
	v_add_f64 v[71:72], v[52:53], v[56:57]
	v_add_f64 v[75:76], v[62:63], v[54:55]
	v_add_f64 v[73:74], v[54:55], v[58:59]
	v_add_f64 v[79:80], v[54:55], -v[58:59]
	v_fma_f64 v[60:61], v[71:72], -0.5, v[60:61]
	v_add_f64 v[71:72], v[52:53], -v[56:57]
	v_fma_f64 v[62:63], v[73:74], -0.5, v[62:63]
	v_add_f64 v[54:55], v[75:76], v[58:59]
	v_add_f64 v[52:53], v[77:78], v[56:57]
	v_fma_f64 v[56:57], v[79:80], s[8:9], v[60:61]
	v_fma_f64 v[60:61], v[79:80], s[10:11], v[60:61]
	;; [unrolled: 1-line block ×4, first 2 shown]
	ds_write_b128 v65, v[52:55]
	ds_write_b128 v65, v[56:59] offset:3456
	ds_write_b128 v65, v[60:63] offset:6912
	s_waitcnt lgkmcnt(0)
	s_barrier
	s_and_saveexec_b64 s[2:3], s[0:1]
	s_cbranch_execz .LBB0_9
; %bb.8:
	v_add_co_u32_e32 v85, vcc, s14, v65
	v_mov_b32_e32 v71, s15
	v_addc_co_u32_e32 v86, vcc, 0, v71, vcc
	v_add_co_u32_e32 v83, vcc, 0x2880, v85
	v_addc_co_u32_e32 v84, vcc, 0, v86, vcc
	v_add_co_u32_e32 v75, vcc, 0x2000, v85
	v_addc_co_u32_e32 v76, vcc, 0, v86, vcc
	global_load_dwordx4 v[75:78], v[75:76], off offset:2176
	ds_read_b128 v[71:74], v65
	s_movk_i32 s8, 0x3000
	s_waitcnt vmcnt(0) lgkmcnt(0)
	v_mul_f64 v[79:80], v[73:74], v[77:78]
	v_fma_f64 v[79:80], v[71:72], v[75:76], -v[79:80]
	v_mul_f64 v[71:72], v[71:72], v[77:78]
	v_fma_f64 v[81:82], v[73:74], v[75:76], v[71:72]
	global_load_dwordx4 v[75:78], v[83:84], off offset:1296
	ds_read_b128 v[71:74], v65 offset:1296
	ds_write_b128 v65, v[79:82]
	s_waitcnt vmcnt(0) lgkmcnt(1)
	v_mul_f64 v[79:80], v[73:74], v[77:78]
	v_fma_f64 v[79:80], v[71:72], v[75:76], -v[79:80]
	v_mul_f64 v[71:72], v[71:72], v[77:78]
	v_fma_f64 v[81:82], v[73:74], v[75:76], v[71:72]
	global_load_dwordx4 v[75:78], v[83:84], off offset:2592
	ds_read_b128 v[71:74], v65 offset:2592
	ds_write_b128 v65, v[79:82] offset:1296
	s_waitcnt vmcnt(0) lgkmcnt(1)
	v_mul_f64 v[79:80], v[73:74], v[77:78]
	v_fma_f64 v[79:80], v[71:72], v[75:76], -v[79:80]
	v_mul_f64 v[71:72], v[71:72], v[77:78]
	v_fma_f64 v[81:82], v[73:74], v[75:76], v[71:72]
	global_load_dwordx4 v[75:78], v[83:84], off offset:3888
	ds_read_b128 v[71:74], v65 offset:3888
	ds_write_b128 v65, v[79:82] offset:2592
	s_waitcnt vmcnt(0) lgkmcnt(1)
	v_mul_f64 v[79:80], v[73:74], v[77:78]
	v_fma_f64 v[79:80], v[71:72], v[75:76], -v[79:80]
	v_mul_f64 v[71:72], v[71:72], v[77:78]
	v_fma_f64 v[81:82], v[73:74], v[75:76], v[71:72]
	v_add_co_u32_e32 v75, vcc, s8, v85
	v_addc_co_u32_e32 v76, vcc, 0, v86, vcc
	global_load_dwordx4 v[75:78], v[75:76], off offset:3264
	ds_read_b128 v[71:74], v65 offset:5184
	s_movk_i32 s8, 0x4000
	ds_write_b128 v65, v[79:82] offset:3888
	v_add_co_u32_e32 v83, vcc, s8, v85
	v_addc_co_u32_e32 v84, vcc, 0, v86, vcc
	s_waitcnt vmcnt(0) lgkmcnt(1)
	v_mul_f64 v[79:80], v[73:74], v[77:78]
	v_fma_f64 v[79:80], v[71:72], v[75:76], -v[79:80]
	v_mul_f64 v[71:72], v[71:72], v[77:78]
	v_fma_f64 v[81:82], v[73:74], v[75:76], v[71:72]
	global_load_dwordx4 v[75:78], v[83:84], off offset:464
	ds_read_b128 v[71:74], v65 offset:6480
	ds_write_b128 v65, v[79:82] offset:5184
	s_waitcnt vmcnt(0) lgkmcnt(1)
	v_mul_f64 v[79:80], v[73:74], v[77:78]
	v_fma_f64 v[79:80], v[71:72], v[75:76], -v[79:80]
	v_mul_f64 v[71:72], v[71:72], v[77:78]
	v_fma_f64 v[81:82], v[73:74], v[75:76], v[71:72]
	global_load_dwordx4 v[75:78], v[83:84], off offset:1760
	ds_read_b128 v[71:74], v65 offset:7776
	ds_write_b128 v65, v[79:82] offset:6480
	;; [unrolled: 8-line block ×3, first 2 shown]
	s_waitcnt vmcnt(0) lgkmcnt(1)
	v_mul_f64 v[79:80], v[73:74], v[77:78]
	v_fma_f64 v[79:80], v[71:72], v[75:76], -v[79:80]
	v_mul_f64 v[71:72], v[71:72], v[77:78]
	v_fma_f64 v[81:82], v[73:74], v[75:76], v[71:72]
	ds_write_b128 v65, v[79:82] offset:9072
.LBB0_9:
	s_or_b64 exec, exec, s[2:3]
	s_waitcnt lgkmcnt(0)
	s_barrier
	s_and_saveexec_b64 s[2:3], s[0:1]
	s_cbranch_execz .LBB0_11
; %bb.10:
	ds_read_b128 v[52:55], v65
	ds_read_b128 v[56:59], v65 offset:1296
	ds_read_b128 v[60:63], v65 offset:2592
	;; [unrolled: 1-line block ×7, first 2 shown]
.LBB0_11:
	s_or_b64 exec, exec, s[2:3]
	s_waitcnt lgkmcnt(0)
	s_barrier
	s_and_saveexec_b64 s[2:3], s[0:1]
	s_cbranch_execz .LBB0_13
; %bb.12:
	v_add_f64 v[22:23], v[54:55], -v[22:23]
	v_add_f64 v[40:41], v[60:61], -v[40:41]
	;; [unrolled: 1-line block ×8, first 2 shown]
	v_fma_f64 v[54:55], v[54:55], 2.0, -v[22:23]
	v_add_f64 v[71:72], v[22:23], -v[40:41]
	v_fma_f64 v[58:59], v[58:59], 2.0, -v[34:35]
	v_add_f64 v[73:74], v[34:35], -v[36:37]
	v_fma_f64 v[56:57], v[56:57], 2.0, -v[32:33]
	v_fma_f64 v[62:63], v[62:63], 2.0, -v[42:43]
	;; [unrolled: 1-line block ×6, first 2 shown]
	v_add_f64 v[38:39], v[38:39], v[32:33]
	v_add_f64 v[75:76], v[42:43], v[20:21]
	v_fma_f64 v[42:43], v[34:35], 2.0, -v[73:74]
	v_add_f64 v[60:61], v[54:55], -v[62:63]
	v_fma_f64 v[62:63], v[22:23], 2.0, -v[71:72]
	v_add_f64 v[8:9], v[56:57], -v[8:9]
	v_add_f64 v[77:78], v[58:59], -v[10:11]
	;; [unrolled: 1-line block ×3, first 2 shown]
	v_fma_f64 v[32:33], v[32:33], 2.0, -v[38:39]
	v_fma_f64 v[79:80], v[20:21], 2.0, -v[75:76]
	s_mov_b32 s8, 0x667f3bcd
	s_mov_b32 s9, 0x3fe6a09e
	;; [unrolled: 1-line block ×4, first 2 shown]
	v_fma_f64 v[36:37], v[73:74], s[8:9], v[71:72]
	v_fma_f64 v[20:21], v[42:43], s[10:11], v[62:63]
	v_fma_f64 v[81:82], v[54:55], 2.0, -v[60:61]
	v_fma_f64 v[54:55], v[58:59], 2.0, -v[77:78]
	;; [unrolled: 1-line block ×4, first 2 shown]
	v_fma_f64 v[58:59], v[32:33], s[10:11], v[79:80]
	v_fma_f64 v[83:84], v[38:39], s[8:9], v[75:76]
	;; [unrolled: 1-line block ×3, first 2 shown]
	v_add_f64 v[22:23], v[60:61], -v[8:9]
	v_fma_f64 v[34:35], v[32:33], s[10:11], v[20:21]
	v_add_f64 v[38:39], v[81:82], -v[54:55]
	v_add_f64 v[20:21], v[40:41], v[77:78]
	v_add_f64 v[36:37], v[52:53], -v[56:57]
	v_fma_f64 v[32:33], v[42:43], s[8:9], v[58:59]
	v_fma_f64 v[8:9], v[73:74], s[8:9], v[83:84]
	v_fma_f64 v[42:43], v[71:72], 2.0, -v[10:11]
	v_fma_f64 v[54:55], v[60:61], 2.0, -v[22:23]
	v_fma_f64 v[58:59], v[62:63], 2.0, -v[34:35]
	v_fma_f64 v[62:63], v[81:82], 2.0, -v[38:39]
	v_lshlrev_b32_e32 v67, 4, v67
	v_fma_f64 v[60:61], v[52:53], 2.0, -v[36:37]
	v_fma_f64 v[56:57], v[79:80], 2.0, -v[32:33]
	;; [unrolled: 1-line block ×4, first 2 shown]
	ds_write_b128 v67, v[60:63]
	ds_write_b128 v67, v[56:59] offset:16
	ds_write_b128 v67, v[52:55] offset:32
	;; [unrolled: 1-line block ×7, first 2 shown]
.LBB0_13:
	s_or_b64 exec, exec, s[2:3]
	s_waitcnt lgkmcnt(0)
	s_barrier
	ds_read_b128 v[8:11], v65 offset:3456
	ds_read_b128 v[20:23], v65 offset:6912
	s_mov_b32 s2, 0xe8584caa
	s_mov_b32 s3, 0xbfebb67a
	;; [unrolled: 1-line block ×3, first 2 shown]
	s_waitcnt lgkmcnt(1)
	v_mul_f64 v[32:33], v[6:7], v[10:11]
	v_mul_f64 v[6:7], v[6:7], v[8:9]
	s_waitcnt lgkmcnt(0)
	v_mul_f64 v[34:35], v[2:3], v[22:23]
	v_mul_f64 v[2:3], v[2:3], v[20:21]
	s_mov_b32 s8, s2
	v_fma_f64 v[8:9], v[4:5], v[8:9], v[32:33]
	v_fma_f64 v[4:5], v[4:5], v[10:11], -v[6:7]
	v_fma_f64 v[6:7], v[0:1], v[20:21], v[34:35]
	v_fma_f64 v[10:11], v[0:1], v[22:23], -v[2:3]
	ds_read_b128 v[0:3], v65
	s_waitcnt lgkmcnt(0)
	s_barrier
	v_add_f64 v[32:33], v[0:1], v[8:9]
	v_add_f64 v[20:21], v[8:9], v[6:7]
	;; [unrolled: 1-line block ×3, first 2 shown]
	v_add_f64 v[34:35], v[4:5], -v[10:11]
	v_add_f64 v[4:5], v[2:3], v[4:5]
	v_add_f64 v[36:37], v[8:9], -v[6:7]
	v_fma_f64 v[8:9], v[20:21], -0.5, v[0:1]
	v_fma_f64 v[20:21], v[22:23], -0.5, v[2:3]
	v_add_f64 v[0:1], v[32:33], v[6:7]
	v_add_f64 v[2:3], v[4:5], v[10:11]
	v_fma_f64 v[4:5], v[34:35], s[2:3], v[8:9]
	v_fma_f64 v[6:7], v[36:37], s[8:9], v[20:21]
	;; [unrolled: 1-line block ×4, first 2 shown]
	ds_write_b128 v68, v[0:3]
	ds_write_b128 v68, v[4:7] offset:128
	ds_write_b128 v68, v[8:11] offset:256
	s_waitcnt lgkmcnt(0)
	s_barrier
	ds_read_b128 v[0:3], v65 offset:3456
	ds_read_b128 v[4:7], v65 offset:6912
	s_waitcnt lgkmcnt(1)
	v_mul_f64 v[8:9], v[18:19], v[2:3]
	s_waitcnt lgkmcnt(0)
	v_mul_f64 v[10:11], v[14:15], v[6:7]
	v_mul_f64 v[18:19], v[18:19], v[0:1]
	;; [unrolled: 1-line block ×3, first 2 shown]
	v_fma_f64 v[8:9], v[16:17], v[0:1], v[8:9]
	v_fma_f64 v[4:5], v[12:13], v[4:5], v[10:11]
	v_fma_f64 v[10:11], v[16:17], v[2:3], -v[18:19]
	v_fma_f64 v[6:7], v[12:13], v[6:7], -v[14:15]
	ds_read_b128 v[0:3], v65
	s_waitcnt lgkmcnt(0)
	s_barrier
	v_add_f64 v[12:13], v[8:9], v[4:5]
	v_add_f64 v[16:17], v[0:1], v[8:9]
	;; [unrolled: 1-line block ×3, first 2 shown]
	v_add_f64 v[18:19], v[10:11], -v[6:7]
	v_add_f64 v[10:11], v[2:3], v[10:11]
	v_add_f64 v[20:21], v[8:9], -v[4:5]
	v_fma_f64 v[12:13], v[12:13], -0.5, v[0:1]
	v_add_f64 v[0:1], v[16:17], v[4:5]
	v_fma_f64 v[14:15], v[14:15], -0.5, v[2:3]
	v_add_f64 v[2:3], v[10:11], v[6:7]
	v_fma_f64 v[4:5], v[18:19], s[2:3], v[12:13]
	v_fma_f64 v[8:9], v[18:19], s[8:9], v[12:13]
	;; [unrolled: 1-line block ×4, first 2 shown]
	ds_write_b128 v69, v[0:3]
	ds_write_b128 v69, v[4:7] offset:384
	ds_write_b128 v69, v[8:11] offset:768
	s_waitcnt lgkmcnt(0)
	s_barrier
	ds_read_b128 v[0:3], v65 offset:3456
	ds_read_b128 v[4:7], v65 offset:6912
	s_waitcnt lgkmcnt(1)
	v_mul_f64 v[8:9], v[30:31], v[2:3]
	s_waitcnt lgkmcnt(0)
	v_mul_f64 v[10:11], v[26:27], v[6:7]
	v_mul_f64 v[12:13], v[30:31], v[0:1]
	;; [unrolled: 1-line block ×3, first 2 shown]
	v_fma_f64 v[8:9], v[28:29], v[0:1], v[8:9]
	v_fma_f64 v[4:5], v[24:25], v[4:5], v[10:11]
	v_fma_f64 v[10:11], v[28:29], v[2:3], -v[12:13]
	v_fma_f64 v[6:7], v[24:25], v[6:7], -v[14:15]
	ds_read_b128 v[0:3], v65
	s_waitcnt lgkmcnt(0)
	s_barrier
	v_add_f64 v[12:13], v[8:9], v[4:5]
	v_add_f64 v[16:17], v[0:1], v[8:9]
	;; [unrolled: 1-line block ×3, first 2 shown]
	v_add_f64 v[18:19], v[10:11], -v[6:7]
	v_add_f64 v[10:11], v[2:3], v[10:11]
	v_add_f64 v[20:21], v[8:9], -v[4:5]
	v_fma_f64 v[12:13], v[12:13], -0.5, v[0:1]
	v_add_f64 v[0:1], v[16:17], v[4:5]
	v_fma_f64 v[14:15], v[14:15], -0.5, v[2:3]
	v_add_f64 v[2:3], v[10:11], v[6:7]
	v_fma_f64 v[4:5], v[18:19], s[2:3], v[12:13]
	v_fma_f64 v[8:9], v[18:19], s[8:9], v[12:13]
	v_fma_f64 v[6:7], v[20:21], s[8:9], v[14:15]
	v_fma_f64 v[10:11], v[20:21], s[2:3], v[14:15]
	ds_write_b128 v70, v[0:3]
	ds_write_b128 v70, v[4:7] offset:1152
	ds_write_b128 v70, v[8:11] offset:2304
	s_waitcnt lgkmcnt(0)
	s_barrier
	ds_read_b128 v[0:3], v65 offset:3456
	ds_read_b128 v[4:7], v65 offset:6912
	s_waitcnt lgkmcnt(1)
	v_mul_f64 v[8:9], v[46:47], v[2:3]
	s_waitcnt lgkmcnt(0)
	v_mul_f64 v[10:11], v[50:51], v[6:7]
	v_mul_f64 v[12:13], v[46:47], v[0:1]
	;; [unrolled: 1-line block ×3, first 2 shown]
	v_fma_f64 v[8:9], v[44:45], v[0:1], v[8:9]
	v_fma_f64 v[4:5], v[48:49], v[4:5], v[10:11]
	v_fma_f64 v[10:11], v[44:45], v[2:3], -v[12:13]
	v_fma_f64 v[6:7], v[48:49], v[6:7], -v[14:15]
	ds_read_b128 v[0:3], v65
	v_add_f64 v[12:13], v[8:9], v[4:5]
	s_waitcnt lgkmcnt(0)
	v_add_f64 v[16:17], v[0:1], v[8:9]
	v_add_f64 v[14:15], v[10:11], v[6:7]
	v_add_f64 v[18:19], v[10:11], -v[6:7]
	v_add_f64 v[10:11], v[2:3], v[10:11]
	v_add_f64 v[20:21], v[8:9], -v[4:5]
	v_fma_f64 v[12:13], v[12:13], -0.5, v[0:1]
	v_add_f64 v[0:1], v[16:17], v[4:5]
	v_fma_f64 v[14:15], v[14:15], -0.5, v[2:3]
	v_add_f64 v[2:3], v[10:11], v[6:7]
	v_fma_f64 v[4:5], v[18:19], s[2:3], v[12:13]
	v_fma_f64 v[8:9], v[18:19], s[8:9], v[12:13]
	;; [unrolled: 1-line block ×4, first 2 shown]
	ds_write_b128 v65, v[0:3]
	ds_write_b128 v65, v[4:7] offset:3456
	ds_write_b128 v65, v[8:11] offset:6912
	s_waitcnt lgkmcnt(0)
	s_barrier
	s_and_b64 exec, exec, s[0:1]
	s_cbranch_execz .LBB0_15
; %bb.14:
	v_mov_b32_e32 v0, s15
	v_add_co_u32_e32 v52, vcc, s14, v65
	v_addc_co_u32_e32 v53, vcc, 0, v0, vcc
	global_load_dwordx4 v[0:3], v65, s[14:15]
	global_load_dwordx4 v[4:7], v65, s[14:15] offset:1296
	global_load_dwordx4 v[8:11], v65, s[14:15] offset:2592
	;; [unrolled: 1-line block ×3, first 2 shown]
	s_movk_i32 s0, 0x1000
	v_add_co_u32_e32 v48, vcc, s0, v52
	v_addc_co_u32_e32 v49, vcc, 0, v53, vcc
	global_load_dwordx4 v[16:19], v[48:49], off offset:1088
	global_load_dwordx4 v[20:23], v[48:49], off offset:2384
	v_mad_u64_u32 v[56:57], s[0:1], s6, v64, 0
	s_movk_i32 s6, 0x2000
	ds_read_b128 v[24:27], v65
	ds_read_b128 v[28:31], v65 offset:1296
	ds_read_b128 v[32:35], v65 offset:2592
	;; [unrolled: 1-line block ×5, first 2 shown]
	global_load_dwordx4 v[48:51], v[48:49], off offset:3680
	v_add_co_u32_e32 v52, vcc, s6, v52
	v_addc_co_u32_e32 v53, vcc, 0, v53, vcc
	global_load_dwordx4 v[52:55], v[52:53], off offset:880
	v_mad_u64_u32 v[58:59], s[2:3], s4, v66, 0
	s_mul_i32 s2, s5, 0x510
	s_mul_hi_u32 s3, s4, 0x510
	s_add_i32 s8, s3, s2
	v_mad_u64_u32 v[60:61], s[2:3], s7, v64, v[57:58]
	v_mov_b32_e32 v63, s13
	s_mulk_i32 s4, 0x510
	v_mad_u64_u32 v[61:62], s[2:3], s5, v66, v[59:60]
	v_mov_b32_e32 v57, v60
	v_lshlrev_b64 v[56:57], 4, v[56:57]
	v_mov_b32_e32 v59, v61
	v_lshlrev_b64 v[58:59], 4, v[58:59]
	v_add_co_u32_e32 v56, vcc, s12, v56
	v_addc_co_u32_e32 v57, vcc, v63, v57, vcc
	v_add_co_u32_e32 v56, vcc, v56, v58
	v_addc_co_u32_e32 v57, vcc, v57, v59, vcc
	v_mov_b32_e32 v67, s8
	v_add_co_u32_e32 v58, vcc, s4, v56
	v_addc_co_u32_e32 v59, vcc, v57, v67, vcc
	v_mov_b32_e32 v62, s8
	v_add_co_u32_e32 v60, vcc, s4, v58
	v_addc_co_u32_e32 v61, vcc, v59, v62, vcc
	s_mov_b32 s0, 0xfcd6e9e0
	s_mov_b32 s1, 0x3f5948b0
	v_mov_b32_e32 v64, s8
	s_waitcnt vmcnt(7) lgkmcnt(5)
	v_mul_f64 v[62:63], v[26:27], v[2:3]
	v_mul_f64 v[2:3], v[24:25], v[2:3]
	s_waitcnt vmcnt(6) lgkmcnt(4)
	v_mul_f64 v[66:67], v[30:31], v[6:7]
	v_mul_f64 v[6:7], v[28:29], v[6:7]
	;; [unrolled: 3-line block ×3, first 2 shown]
	v_mul_f64 v[68:69], v[34:35], v[10:11]
	v_mul_f64 v[10:11], v[32:33], v[10:11]
	v_fma_f64 v[24:25], v[24:25], v[0:1], v[62:63]
	v_fma_f64 v[2:3], v[0:1], v[26:27], -v[2:3]
	v_fma_f64 v[26:27], v[28:29], v[4:5], v[66:67]
	v_fma_f64 v[6:7], v[4:5], v[30:31], -v[6:7]
	;; [unrolled: 2-line block ×4, first 2 shown]
	s_waitcnt vmcnt(3) lgkmcnt(1)
	v_mul_f64 v[72:73], v[42:43], v[18:19]
	v_mul_f64 v[18:19], v[40:41], v[18:19]
	;; [unrolled: 1-line block ×10, first 2 shown]
	v_fma_f64 v[24:25], v[40:41], v[16:17], v[72:73]
	v_fma_f64 v[16:17], v[16:17], v[42:43], -v[18:19]
	s_waitcnt vmcnt(2) lgkmcnt(0)
	v_mul_f64 v[74:75], v[46:47], v[22:23]
	v_mul_f64 v[22:23], v[44:45], v[22:23]
	v_add_co_u32_e32 v18, vcc, s4, v60
	v_addc_co_u32_e32 v19, vcc, v61, v64, vcc
	global_store_dwordx4 v[56:57], v[0:3], off
	global_store_dwordx4 v[58:59], v[4:7], off
	;; [unrolled: 1-line block ×4, first 2 shown]
	ds_read_b128 v[4:7], v65 offset:7776
	ds_read_b128 v[8:11], v65 offset:9072
	v_mul_f64 v[2:3], v[16:17], s[0:1]
	v_mov_b32_e32 v17, s8
	v_add_co_u32_e32 v16, vcc, s4, v18
	v_mul_f64 v[0:1], v[24:25], s[0:1]
	v_fma_f64 v[12:13], v[44:45], v[20:21], v[74:75]
	v_fma_f64 v[14:15], v[20:21], v[46:47], -v[22:23]
	v_addc_co_u32_e32 v17, vcc, v19, v17, vcc
	s_waitcnt vmcnt(5) lgkmcnt(1)
	v_mul_f64 v[18:19], v[6:7], v[50:51]
	v_mul_f64 v[20:21], v[4:5], v[50:51]
	s_waitcnt vmcnt(4) lgkmcnt(0)
	v_mul_f64 v[22:23], v[10:11], v[54:55]
	v_mul_f64 v[24:25], v[8:9], v[54:55]
	global_store_dwordx4 v[16:17], v[0:3], off
	v_fma_f64 v[4:5], v[4:5], v[48:49], v[18:19]
	v_mul_f64 v[0:1], v[12:13], s[0:1]
	v_mul_f64 v[2:3], v[14:15], s[0:1]
	v_fma_f64 v[6:7], v[48:49], v[6:7], -v[20:21]
	v_fma_f64 v[8:9], v[8:9], v[52:53], v[22:23]
	v_fma_f64 v[10:11], v[52:53], v[10:11], -v[24:25]
	v_mov_b32_e32 v13, s8
	v_add_co_u32_e32 v12, vcc, s4, v16
	v_addc_co_u32_e32 v13, vcc, v17, v13, vcc
	global_store_dwordx4 v[12:13], v[0:3], off
	v_mov_b32_e32 v14, s8
	v_mul_f64 v[0:1], v[4:5], s[0:1]
	v_mul_f64 v[2:3], v[6:7], s[0:1]
	;; [unrolled: 1-line block ×4, first 2 shown]
	v_add_co_u32_e32 v8, vcc, s4, v12
	v_addc_co_u32_e32 v9, vcc, v13, v14, vcc
	global_store_dwordx4 v[8:9], v[0:3], off
	s_nop 0
	v_mov_b32_e32 v1, s8
	v_add_co_u32_e32 v0, vcc, s4, v8
	v_addc_co_u32_e32 v1, vcc, v9, v1, vcc
	global_store_dwordx4 v[0:1], v[4:7], off
.LBB0_15:
	s_endpgm
	.section	.rodata,"a",@progbits
	.p2align	6, 0x0
	.amdhsa_kernel bluestein_single_fwd_len648_dim1_dp_op_CI_CI
		.amdhsa_group_segment_fixed_size 10368
		.amdhsa_private_segment_fixed_size 0
		.amdhsa_kernarg_size 104
		.amdhsa_user_sgpr_count 6
		.amdhsa_user_sgpr_private_segment_buffer 1
		.amdhsa_user_sgpr_dispatch_ptr 0
		.amdhsa_user_sgpr_queue_ptr 0
		.amdhsa_user_sgpr_kernarg_segment_ptr 1
		.amdhsa_user_sgpr_dispatch_id 0
		.amdhsa_user_sgpr_flat_scratch_init 0
		.amdhsa_user_sgpr_private_segment_size 0
		.amdhsa_uses_dynamic_stack 0
		.amdhsa_system_sgpr_private_segment_wavefront_offset 0
		.amdhsa_system_sgpr_workgroup_id_x 1
		.amdhsa_system_sgpr_workgroup_id_y 0
		.amdhsa_system_sgpr_workgroup_id_z 0
		.amdhsa_system_sgpr_workgroup_info 0
		.amdhsa_system_vgpr_workitem_id 0
		.amdhsa_next_free_vgpr 87
		.amdhsa_next_free_sgpr 18
		.amdhsa_reserve_vcc 1
		.amdhsa_reserve_flat_scratch 0
		.amdhsa_float_round_mode_32 0
		.amdhsa_float_round_mode_16_64 0
		.amdhsa_float_denorm_mode_32 3
		.amdhsa_float_denorm_mode_16_64 3
		.amdhsa_dx10_clamp 1
		.amdhsa_ieee_mode 1
		.amdhsa_fp16_overflow 0
		.amdhsa_exception_fp_ieee_invalid_op 0
		.amdhsa_exception_fp_denorm_src 0
		.amdhsa_exception_fp_ieee_div_zero 0
		.amdhsa_exception_fp_ieee_overflow 0
		.amdhsa_exception_fp_ieee_underflow 0
		.amdhsa_exception_fp_ieee_inexact 0
		.amdhsa_exception_int_div_zero 0
	.end_amdhsa_kernel
	.text
.Lfunc_end0:
	.size	bluestein_single_fwd_len648_dim1_dp_op_CI_CI, .Lfunc_end0-bluestein_single_fwd_len648_dim1_dp_op_CI_CI
                                        ; -- End function
	.section	.AMDGPU.csdata,"",@progbits
; Kernel info:
; codeLenInByte = 5740
; NumSgprs: 22
; NumVgprs: 87
; ScratchSize: 0
; MemoryBound: 0
; FloatMode: 240
; IeeeMode: 1
; LDSByteSize: 10368 bytes/workgroup (compile time only)
; SGPRBlocks: 2
; VGPRBlocks: 21
; NumSGPRsForWavesPerEU: 22
; NumVGPRsForWavesPerEU: 87
; Occupancy: 2
; WaveLimiterHint : 1
; COMPUTE_PGM_RSRC2:SCRATCH_EN: 0
; COMPUTE_PGM_RSRC2:USER_SGPR: 6
; COMPUTE_PGM_RSRC2:TRAP_HANDLER: 0
; COMPUTE_PGM_RSRC2:TGID_X_EN: 1
; COMPUTE_PGM_RSRC2:TGID_Y_EN: 0
; COMPUTE_PGM_RSRC2:TGID_Z_EN: 0
; COMPUTE_PGM_RSRC2:TIDIG_COMP_CNT: 0
	.type	__hip_cuid_ab2be03adc158034,@object ; @__hip_cuid_ab2be03adc158034
	.section	.bss,"aw",@nobits
	.globl	__hip_cuid_ab2be03adc158034
__hip_cuid_ab2be03adc158034:
	.byte	0                               ; 0x0
	.size	__hip_cuid_ab2be03adc158034, 1

	.ident	"AMD clang version 19.0.0git (https://github.com/RadeonOpenCompute/llvm-project roc-6.4.0 25133 c7fe45cf4b819c5991fe208aaa96edf142730f1d)"
	.section	".note.GNU-stack","",@progbits
	.addrsig
	.addrsig_sym __hip_cuid_ab2be03adc158034
	.amdgpu_metadata
---
amdhsa.kernels:
  - .args:
      - .actual_access:  read_only
        .address_space:  global
        .offset:         0
        .size:           8
        .value_kind:     global_buffer
      - .actual_access:  read_only
        .address_space:  global
        .offset:         8
        .size:           8
        .value_kind:     global_buffer
      - .actual_access:  read_only
        .address_space:  global
        .offset:         16
        .size:           8
        .value_kind:     global_buffer
      - .actual_access:  read_only
        .address_space:  global
        .offset:         24
        .size:           8
        .value_kind:     global_buffer
      - .actual_access:  read_only
        .address_space:  global
        .offset:         32
        .size:           8
        .value_kind:     global_buffer
      - .offset:         40
        .size:           8
        .value_kind:     by_value
      - .address_space:  global
        .offset:         48
        .size:           8
        .value_kind:     global_buffer
      - .address_space:  global
        .offset:         56
        .size:           8
        .value_kind:     global_buffer
      - .address_space:  global
        .offset:         64
        .size:           8
        .value_kind:     global_buffer
      - .address_space:  global
        .offset:         72
        .size:           8
        .value_kind:     global_buffer
      - .offset:         80
        .size:           4
        .value_kind:     by_value
      - .address_space:  global
        .offset:         88
        .size:           8
        .value_kind:     global_buffer
      - .address_space:  global
        .offset:         96
        .size:           8
        .value_kind:     global_buffer
    .group_segment_fixed_size: 10368
    .kernarg_segment_align: 8
    .kernarg_segment_size: 104
    .language:       OpenCL C
    .language_version:
      - 2
      - 0
    .max_flat_workgroup_size: 216
    .name:           bluestein_single_fwd_len648_dim1_dp_op_CI_CI
    .private_segment_fixed_size: 0
    .sgpr_count:     22
    .sgpr_spill_count: 0
    .symbol:         bluestein_single_fwd_len648_dim1_dp_op_CI_CI.kd
    .uniform_work_group_size: 1
    .uses_dynamic_stack: false
    .vgpr_count:     87
    .vgpr_spill_count: 0
    .wavefront_size: 64
amdhsa.target:   amdgcn-amd-amdhsa--gfx906
amdhsa.version:
  - 1
  - 2
...

	.end_amdgpu_metadata
